;; amdgpu-corpus repo=zjin-lcf/HeCBench kind=compiled arch=gfx906 opt=O3
	.amdgcn_target "amdgcn-amd-amdhsa--gfx906"
	.amdhsa_code_object_version 6
	.text
	.protected	_Z11postprocessPKfPfS0_S0_S0_S1_S1_Piffffiiiiiff ; -- Begin function _Z11postprocessPKfPfS0_S0_S0_S1_S1_Piffffiiiiiff
	.globl	_Z11postprocessPKfPfS0_S0_S0_S1_S1_Piffffiiiiiff
	.p2align	8
	.type	_Z11postprocessPKfPfS0_S0_S0_S1_S1_Piffffiiiiiff,@function
_Z11postprocessPKfPfS0_S0_S0_S1_S1_Piffffiiiiiff: ; @_Z11postprocessPKfPfS0_S0_S0_S1_S1_Piffffiiiiiff
; %bb.0:
	s_load_dwordx8 s[24:31], s[4:5], 0x40
	s_waitcnt lgkmcnt(0)
	v_cmp_gt_i32_e32 vcc, s30, v0
	s_and_saveexec_b64 s[0:1], vcc
	s_cbranch_execz .LBB0_9
; %bb.1:
	s_mul_i32 s0, s30, s6
	v_add_u32_e32 v7, s0, v0
	v_mul_lo_u32 v1, v7, s31
	s_load_dwordx8 s[16:23], s[4:5], 0x0
	s_mov_b32 s3, 0xbfb8aa3b
	s_mov_b32 s7, 0x42ce8ed0
	v_ashrrev_i32_e32 v2, 31, v1
	v_lshlrev_b64 v[1:2], 2, v[1:2]
	s_waitcnt lgkmcnt(0)
	v_mov_b32_e32 v3, s17
	v_add_co_u32_e64 v4, s[0:1], s16, v1
	v_addc_co_u32_e64 v5, vcc, v3, v2, s[0:1]
	global_load_dword v1, v[4:5], off
	s_mov_b32 s16, 0xc2b17218
	s_abs_i32 s2, s28
	v_cvt_f32_u32_e32 v8, s2
	s_load_dwordx4 s[36:39], s[4:5], 0x60
	v_rcp_iflag_f32_e32 v8, v8
	s_waitcnt vmcnt(0)
	v_mul_f32_e32 v3, 0xbfb8aa3b, v1
	v_fma_f32 v5, v1, s3, -v3
	v_rndne_f32_e32 v6, v3
	v_fmac_f32_e32 v5, 0xb2a5705f, v1
	v_sub_f32_e32 v3, v3, v6
	v_add_f32_e32 v3, v3, v5
	v_cvt_i32_f32_e32 v6, v6
	v_exp_f32_e32 v3, v3
	v_cmp_nlt_f32_e32 vcc, s7, v1
	v_mov_b32_e32 v5, 0x7f800000
	v_ldexp_f32 v3, v3, v6
	v_cndmask_b32_e32 v3, 0, v3, vcc
	v_cmp_ngt_f32_e32 vcc, s16, v1
	v_cndmask_b32_e32 v1, v5, v3, vcc
	v_add_f32_e32 v1, 1.0, v1
	v_div_scale_f32 v3, s[8:9], v1, v1, 1.0
	v_div_scale_f32 v6, vcc, 1.0, v1, 1.0
	s_load_dwordx8 s[8:15], s[4:5], 0x20
	s_sub_i32 s5, 0, s2
	s_abs_i32 s4, s6
	v_rcp_f32_e32 v9, v3
	v_fma_f32 v10, -v3, v9, 1.0
	v_fmac_f32_e32 v9, v10, v9
	v_mul_f32_e32 v10, v6, v9
	v_fma_f32 v11, -v3, v10, v6
	v_fmac_f32_e32 v10, v11, v9
	v_fma_f32 v3, -v3, v10, v6
	v_div_fmas_f32 v6, v3, v9, v10
	v_mul_f32_e32 v3, 0x4f7ffffe, v8
	v_cvt_u32_f32_e32 v3, v3
	v_readfirstlane_b32 s30, v3
	s_mul_i32 s5, s5, s30
	s_mul_hi_u32 s5, s30, s5
	s_add_i32 s30, s30, s5
	s_mul_hi_u32 s5, s4, s30
	v_mov_b32_e32 v3, 0
	s_cmp_lt_i32 s31, 2
	v_div_fixup_f32 v11, v6, v1, 1.0
	s_cbranch_scc1 .LBB0_5
; %bb.2:
	v_mov_b32_e32 v1, s17
	v_addc_co_u32_e64 v2, vcc, v1, v2, s[0:1]
	v_add_co_u32_e32 v1, vcc, 4, v4
	v_addc_co_u32_e32 v2, vcc, 0, v2, vcc
	s_mov_b32 s0, 1
	v_mov_b32_e32 v3, 0
.LBB0_3:                                ; =>This Inner Loop Header: Depth=1
	global_load_dword v4, v[1:2], off
	s_waitcnt vmcnt(0)
	v_mul_f32_e32 v6, 0xbfb8aa3b, v4
	v_rndne_f32_e32 v8, v6
	v_fma_f32 v9, v4, s3, -v6
	v_sub_f32_e32 v6, v6, v8
	v_fmac_f32_e32 v9, 0xb2a5705f, v4
	v_add_f32_e32 v6, v6, v9
	v_cvt_i32_f32_e32 v8, v8
	v_exp_f32_e32 v6, v6
	v_cmp_nlt_f32_e32 vcc, s7, v4
	v_ldexp_f32 v6, v6, v8
	v_cndmask_b32_e32 v6, 0, v6, vcc
	v_cmp_ngt_f32_e32 vcc, s16, v4
	v_cndmask_b32_e32 v4, v5, v6, vcc
	v_add_f32_e32 v4, 1.0, v4
	v_div_scale_f32 v6, s[34:35], v4, v4, 1.0
	v_div_scale_f32 v8, vcc, 1.0, v4, 1.0
	v_rcp_f32_e32 v9, v6
	v_fma_f32 v10, -v6, v9, 1.0
	v_fmac_f32_e32 v9, v10, v9
	v_mul_f32_e32 v10, v8, v9
	v_fma_f32 v12, -v6, v10, v8
	v_fmac_f32_e32 v10, v12, v9
	v_fma_f32 v6, -v6, v10, v8
	v_div_fmas_f32 v6, v6, v9, v10
	v_add_co_u32_e32 v1, vcc, 4, v1
	v_addc_co_u32_e32 v2, vcc, 0, v2, vcc
	v_mov_b32_e32 v8, s0
	s_add_i32 s0, s0, 1
	s_cmp_eq_u32 s31, s0
	v_div_fixup_f32 v4, v6, v4, 1.0
	v_cmp_gt_f32_e32 vcc, v4, v11
	v_cndmask_b32_e32 v3, v3, v8, vcc
	v_cndmask_b32_e32 v11, v11, v4, vcc
	s_cbranch_scc0 .LBB0_3
; %bb.4:
	v_cvt_f32_u32_e32 v3, v3
.LBB0_5:
	s_ashr_i32 s0, s6, 31
	s_ashr_i32 s1, s28, 31
	s_waitcnt lgkmcnt(0)
	v_cmp_le_f32_e32 vcc, s37, v11
	s_and_b64 exec, exec, vcc
	s_cbranch_execz .LBB0_9
; %bb.6:
	s_xor_b32 s0, s0, s1
	s_mul_i32 s1, s5, s2
	s_sub_i32 s1, s4, s1
	s_add_i32 s3, s5, 1
	s_sub_i32 s4, s1, s2
	s_cmp_ge_u32 s1, s2
	s_cselect_b32 s3, s3, s5
	s_cselect_b32 s1, s4, s1
	s_add_i32 s4, s3, 1
	s_cmp_ge_u32 s1, s2
	s_cselect_b32 s1, s4, s3
	s_xor_b32 s1, s1, s0
	s_sub_i32 s2, s1, s0
	s_mul_i32 s0, s2, s28
	s_sub_i32 s0, s6, s0
	v_cvt_f32_i32_e32 v1, s0
	s_add_i32 s0, s28, -1
	v_cvt_f32_i32_e32 v4, s0
	v_mov_b32_e32 v2, s24
	v_sub_f32_e32 v2, s25, v2
	v_mul_f32_e32 v1, v2, v1
	v_div_scale_f32 v2, s[0:1], v4, v4, v1
	v_cvt_f32_i32_e32 v6, s2
	s_add_i32 s0, s29, -1
	v_cvt_f32_i32_e32 v10, s0
	v_div_scale_f32 v5, vcc, v1, v4, v1
	v_mov_b32_e32 v8, s26
	v_sub_f32_e32 v8, s27, v8
	v_mul_f32_e32 v16, v8, v6
	v_div_scale_f32 v6, s[0:1], v10, v10, v16
	v_div_scale_f32 v9, s[0:1], v16, v10, v16
	s_mov_b32 s2, 0xc2ce8ed0
	s_mov_b32 s4, 0x42b17218
	v_rcp_f32_e32 v8, v2
	s_mov_b64 s[16:17], exec
	v_fma_f32 v12, -v2, v8, 1.0
	v_fmac_f32_e32 v8, v12, v8
	v_mul_f32_e32 v12, v5, v8
	v_fma_f32 v13, -v2, v12, v5
	v_fmac_f32_e32 v12, v13, v8
	v_fma_f32 v2, -v2, v12, v5
	v_rcp_f32_e32 v5, v6
	v_div_fmas_f32 v2, v2, v8, v12
	v_lshlrev_b32_e32 v12, 4, v0
	s_mov_b64 vcc, s[0:1]
	v_fma_f32 v13, -v6, v5, 1.0
	v_fmac_f32_e32 v5, v13, v5
	v_mul_f32_e32 v13, v9, v5
	v_fma_f32 v14, -v6, v13, v9
	v_fmac_f32_e32 v13, v14, v5
	v_fma_f32 v9, -v6, v13, v9
	v_div_fmas_f32 v5, v9, v5, v13
	global_load_dwordx4 v[12:15], v12, s[22:23]
	v_mul_lo_u32 v8, v7, s36
	v_lshlrev_b32_e32 v0, 1, v0
	v_and_b32_e32 v0, 0x7fc, v0
	global_load_dword v6, v0, s[8:9]
	v_ashrrev_i32_e32 v9, 31, v8
	v_div_fixup_f32 v0, v2, v4, v1
	v_add_f32_e32 v4, s24, v0
	v_lshlrev_b64 v[0:1], 2, v[8:9]
	v_mov_b32_e32 v2, s19
	v_add_co_u32_e32 v20, vcc, s18, v0
	v_addc_co_u32_e32 v21, vcc, v2, v1, vcc
	s_mov_b32 s0, 0xf800000
	v_div_fixup_f32 v0, v5, v10, v16
	global_load_dwordx4 v[16:19], v[20:21], off
	v_add_f32_e32 v5, s26, v0
	s_waitcnt vmcnt(2)
	v_mul_f32_e32 v1, v13, v13
	v_fmac_f32_e32 v1, v12, v12
	v_mul_f32_e32 v2, 0x4f800000, v1
	v_cmp_gt_f32_e32 vcc, s0, v1
	v_cndmask_b32_e32 v1, v1, v2, vcc
	v_sqrt_f32_e32 v2, v1
	s_waitcnt vmcnt(1)
	v_fmac_f32_e32 v6, 0.5, v14
	v_add_u32_e32 v0, -1, v2
	v_fma_f32 v9, -v0, v2, v1
	v_cmp_ge_f32_e64 s[0:1], 0, v9
	v_add_u32_e32 v9, 1, v2
	v_cndmask_b32_e64 v0, v2, v0, s[0:1]
	v_fma_f32 v2, -v9, v2, v1
	v_cmp_lt_f32_e64 s[0:1], 0, v2
	v_cndmask_b32_e64 v0, v0, v9, s[0:1]
	v_mul_f32_e32 v2, 0x37800000, v0
	v_cndmask_b32_e32 v0, v0, v2, vcc
	v_mov_b32_e32 v2, 0x260
	v_cmp_class_f32_e32 vcc, v1, v2
	v_cndmask_b32_e32 v0, v0, v1, vcc
	s_waitcnt vmcnt(0)
	v_fmac_f32_e32 v4, v16, v0
	v_fmac_f32_e32 v5, v0, v17
	s_mov_b32 s0, 0x3fb8aa3b
	v_mul_f32_e32 v0, 0x3fb8aa3b, v19
	v_fma_f32 v1, v19, s0, -v0
	v_rndne_f32_e32 v2, v0
	v_fmac_f32_e32 v1, 0x32a5705f, v19
	v_sub_f32_e32 v0, v0, v2
	v_add_f32_e32 v0, v0, v1
	v_exp_f32_e32 v0, v0
	v_cvt_i32_f32_e32 v1, v2
	v_cmp_ngt_f32_e32 vcc, s2, v19
	v_fmac_f32_e32 v6, v14, v18
	v_mov_b32_e32 v17, 0x7f800000
	v_ldexp_f32 v0, v0, v1
	v_cndmask_b32_e32 v16, 0, v0, vcc
	global_load_dwordx3 v[0:2], v[20:21], off offset:16
	v_cmp_nlt_f32_e32 vcc, s4, v19
	s_waitcnt vmcnt(0)
	v_mul_f32_e32 v9, 0x3fb8aa3b, v0
	v_fma_f32 v10, v0, s0, -v9
	v_rndne_f32_e32 v18, v9
	v_fmac_f32_e32 v10, 0x32a5705f, v0
	v_sub_f32_e32 v9, v9, v18
	v_add_f32_e32 v9, v9, v10
	v_exp_f32_e32 v9, v9
	v_cvt_i32_f32_e32 v10, v18
	v_add_f32_e32 v2, v15, v2
	v_ldexp_f32 v9, v9, v10
	v_mul_f32_e32 v10, 0x3fb8aa3b, v1
	v_fma_f32 v18, v1, s0, -v10
	v_rndne_f32_e32 v19, v10
	v_fmac_f32_e32 v18, 0x32a5705f, v1
	v_sub_f32_e32 v10, v10, v19
	v_add_f32_e32 v10, v10, v18
	v_exp_f32_e32 v10, v10
	v_cvt_i32_f32_e32 v18, v19
	v_cmp_ngt_f32_e64 s[0:1], s2, v0
	v_cmp_ngt_f32_e64 s[2:3], s2, v1
	v_ldexp_f32 v10, v10, v18
	v_cndmask_b32_e64 v18, 0, v9, s[0:1]
	v_cmp_nlt_f32_e64 s[0:1], s4, v0
	v_lshlrev_b32_e32 v0, 1, v7
	v_cndmask_b32_e64 v19, 0, v10, s[2:3]
	v_cmp_nlt_f32_e64 s[2:3], s4, v1
	v_ashrrev_i32_e32 v1, 31, v0
	v_lshlrev_b64 v[0:1], 2, v[0:1]
	v_mov_b32_e32 v7, s21
	v_add_co_u32_e64 v9, s[4:5], s20, v0
	v_addc_co_u32_e64 v10, s[4:5], v7, v1, s[4:5]
	global_load_dwordx2 v[9:10], v[9:10], off
	v_cndmask_b32_e32 v0, v17, v16, vcc
	v_mul_f32_e32 v7, v12, v0
	v_mbcnt_lo_u32_b32 v12, s16, 0
	v_cndmask_b32_e64 v0, v17, v18, s[0:1]
	v_cndmask_b32_e64 v1, v17, v19, s[2:3]
	v_mbcnt_hi_u32_b32 v12, s17, v12
	v_mul_f32_e32 v0, v13, v0
	v_mul_f32_e32 v1, v14, v1
	v_cmp_eq_u32_e32 vcc, 0, v12
	global_store_dwordx4 v[20:21], v[4:7], off
	global_store_dwordx3 v[20:21], v[0:2], off offset:16
                                        ; implicit-def: $vgpr13
	s_and_saveexec_b64 s[0:1], vcc
	s_cbranch_execz .LBB0_8
; %bb.7:
	s_bcnt1_i32_b64 s2, s[16:17]
	v_mov_b32_e32 v13, 0
	v_mov_b32_e32 v14, s2
	global_atomic_add v13, v13, v14, s[14:15] glc
.LBB0_8:
	s_or_b64 exec, exec, s[0:1]
	s_waitcnt vmcnt(0)
	v_readfirstlane_b32 s0, v13
	v_add_u32_e32 v12, s0, v12
	v_ashrrev_i32_e32 v13, 31, v12
	v_lshlrev_b64 v[13:14], 2, v[12:13]
	v_mov_b32_e32 v15, s13
	v_add_co_u32_e32 v13, vcc, s12, v13
	v_subrev_f32_e32 v2, s38, v2
	s_mov_b32 s2, 0x40490fdb
	v_addc_co_u32_e32 v14, vcc, v15, v14, vcc
	v_div_scale_f32 v15, s[0:1], s2, s2, v2
	v_rcp_f32_e32 v16, v15
	v_fma_f32 v17, -v15, v16, 1.0
	v_fmac_f32_e32 v16, v17, v16
	v_div_scale_f32 v17, vcc, v2, s2, v2
	v_mul_f32_e32 v18, v17, v16
	v_fma_f32 v19, -v15, v18, v17
	v_fmac_f32_e32 v18, v19, v16
	v_fma_f32 v15, -v15, v18, v17
	v_div_fmas_f32 v15, v15, v16, v18
	v_cvt_f32_i32_e32 v17, v8
	v_lshl_add_u32 v8, v12, 3, v12
	v_cmp_ngt_f32_e32 vcc, v9, v10
	v_ashrrev_i32_e32 v9, 31, v8
	v_lshlrev_b64 v[8:9], 2, v[8:9]
	v_cndmask_b32_e64 v10, 0, 1.0, vcc
	v_mov_b32_e32 v16, s11
	v_add_co_u32_e32 v8, vcc, s10, v8
	v_addc_co_u32_e32 v9, vcc, v16, v9, vcc
	global_store_dwordx4 v[8:9], v[4:7], off
	global_store_dword v[8:9], v17, off offset:32
	v_div_fixup_f32 v4, v15, s2, v2
	v_floor_f32_e32 v4, v4
	v_fmac_f32_e32 v2, 0xc0490fdb, v4
	v_add_f32_e32 v2, s38, v2
	v_fmac_f32_e32 v2, 0x40490fdb, v10
	global_store_dwordx4 v[8:9], v[0:3], off offset:16
	global_store_dword v[13:14], v11, off
.LBB0_9:
	s_endpgm
	.section	.rodata,"a",@progbits
	.p2align	6, 0x0
	.amdhsa_kernel _Z11postprocessPKfPfS0_S0_S0_S1_S1_Piffffiiiiiff
		.amdhsa_group_segment_fixed_size 0
		.amdhsa_private_segment_fixed_size 0
		.amdhsa_kernarg_size 108
		.amdhsa_user_sgpr_count 6
		.amdhsa_user_sgpr_private_segment_buffer 1
		.amdhsa_user_sgpr_dispatch_ptr 0
		.amdhsa_user_sgpr_queue_ptr 0
		.amdhsa_user_sgpr_kernarg_segment_ptr 1
		.amdhsa_user_sgpr_dispatch_id 0
		.amdhsa_user_sgpr_flat_scratch_init 0
		.amdhsa_user_sgpr_private_segment_size 0
		.amdhsa_uses_dynamic_stack 0
		.amdhsa_system_sgpr_private_segment_wavefront_offset 0
		.amdhsa_system_sgpr_workgroup_id_x 1
		.amdhsa_system_sgpr_workgroup_id_y 0
		.amdhsa_system_sgpr_workgroup_id_z 0
		.amdhsa_system_sgpr_workgroup_info 0
		.amdhsa_system_vgpr_workitem_id 0
		.amdhsa_next_free_vgpr 22
		.amdhsa_next_free_sgpr 40
		.amdhsa_reserve_vcc 1
		.amdhsa_reserve_flat_scratch 0
		.amdhsa_float_round_mode_32 0
		.amdhsa_float_round_mode_16_64 0
		.amdhsa_float_denorm_mode_32 3
		.amdhsa_float_denorm_mode_16_64 3
		.amdhsa_dx10_clamp 1
		.amdhsa_ieee_mode 1
		.amdhsa_fp16_overflow 0
		.amdhsa_exception_fp_ieee_invalid_op 0
		.amdhsa_exception_fp_denorm_src 0
		.amdhsa_exception_fp_ieee_div_zero 0
		.amdhsa_exception_fp_ieee_overflow 0
		.amdhsa_exception_fp_ieee_underflow 0
		.amdhsa_exception_fp_ieee_inexact 0
		.amdhsa_exception_int_div_zero 0
	.end_amdhsa_kernel
	.text
.Lfunc_end0:
	.size	_Z11postprocessPKfPfS0_S0_S0_S1_S1_Piffffiiiiiff, .Lfunc_end0-_Z11postprocessPKfPfS0_S0_S0_S1_S1_Piffffiiiiiff
                                        ; -- End function
	.set _Z11postprocessPKfPfS0_S0_S0_S1_S1_Piffffiiiiiff.num_vgpr, 22
	.set _Z11postprocessPKfPfS0_S0_S0_S1_S1_Piffffiiiiiff.num_agpr, 0
	.set _Z11postprocessPKfPfS0_S0_S0_S1_S1_Piffffiiiiiff.numbered_sgpr, 40
	.set _Z11postprocessPKfPfS0_S0_S0_S1_S1_Piffffiiiiiff.num_named_barrier, 0
	.set _Z11postprocessPKfPfS0_S0_S0_S1_S1_Piffffiiiiiff.private_seg_size, 0
	.set _Z11postprocessPKfPfS0_S0_S0_S1_S1_Piffffiiiiiff.uses_vcc, 1
	.set _Z11postprocessPKfPfS0_S0_S0_S1_S1_Piffffiiiiiff.uses_flat_scratch, 0
	.set _Z11postprocessPKfPfS0_S0_S0_S1_S1_Piffffiiiiiff.has_dyn_sized_stack, 0
	.set _Z11postprocessPKfPfS0_S0_S0_S1_S1_Piffffiiiiiff.has_recursion, 0
	.set _Z11postprocessPKfPfS0_S0_S0_S1_S1_Piffffiiiiiff.has_indirect_call, 0
	.section	.AMDGPU.csdata,"",@progbits
; Kernel info:
; codeLenInByte = 1724
; TotalNumSgprs: 44
; NumVgprs: 22
; ScratchSize: 0
; MemoryBound: 0
; FloatMode: 240
; IeeeMode: 1
; LDSByteSize: 0 bytes/workgroup (compile time only)
; SGPRBlocks: 5
; VGPRBlocks: 5
; NumSGPRsForWavesPerEU: 44
; NumVGPRsForWavesPerEU: 22
; Occupancy: 10
; WaveLimiterHint : 0
; COMPUTE_PGM_RSRC2:SCRATCH_EN: 0
; COMPUTE_PGM_RSRC2:USER_SGPR: 6
; COMPUTE_PGM_RSRC2:TRAP_HANDLER: 0
; COMPUTE_PGM_RSRC2:TGID_X_EN: 1
; COMPUTE_PGM_RSRC2:TGID_Y_EN: 0
; COMPUTE_PGM_RSRC2:TGID_Z_EN: 0
; COMPUTE_PGM_RSRC2:TIDIG_COMP_CNT: 0
	.section	.AMDGPU.gpr_maximums,"",@progbits
	.set amdgpu.max_num_vgpr, 0
	.set amdgpu.max_num_agpr, 0
	.set amdgpu.max_num_sgpr, 0
	.section	.AMDGPU.csdata,"",@progbits
	.type	__hip_cuid_42b0fc50ff7c0c67,@object ; @__hip_cuid_42b0fc50ff7c0c67
	.section	.bss,"aw",@nobits
	.globl	__hip_cuid_42b0fc50ff7c0c67
__hip_cuid_42b0fc50ff7c0c67:
	.byte	0                               ; 0x0
	.size	__hip_cuid_42b0fc50ff7c0c67, 1

	.ident	"AMD clang version 22.0.0git (https://github.com/RadeonOpenCompute/llvm-project roc-7.2.4 26084 f58b06dce1f9c15707c5f808fd002e18c2accf7e)"
	.section	".note.GNU-stack","",@progbits
	.addrsig
	.addrsig_sym __hip_cuid_42b0fc50ff7c0c67
	.amdgpu_metadata
---
amdhsa.kernels:
  - .args:
      - .actual_access:  read_only
        .address_space:  global
        .offset:         0
        .size:           8
        .value_kind:     global_buffer
      - .address_space:  global
        .offset:         8
        .size:           8
        .value_kind:     global_buffer
      - .actual_access:  read_only
        .address_space:  global
        .offset:         16
        .size:           8
        .value_kind:     global_buffer
      - .actual_access:  read_only
        .address_space:  global
        .offset:         24
        .size:           8
        .value_kind:     global_buffer
      - .actual_access:  read_only
        .address_space:  global
        .offset:         32
        .size:           8
        .value_kind:     global_buffer
      - .actual_access:  write_only
        .address_space:  global
        .offset:         40
        .size:           8
        .value_kind:     global_buffer
      - .actual_access:  write_only
        .address_space:  global
        .offset:         48
        .size:           8
        .value_kind:     global_buffer
      - .address_space:  global
        .offset:         56
        .size:           8
        .value_kind:     global_buffer
      - .offset:         64
        .size:           4
        .value_kind:     by_value
      - .offset:         68
        .size:           4
        .value_kind:     by_value
      - .offset:         72
        .size:           4
        .value_kind:     by_value
      - .offset:         76
        .size:           4
        .value_kind:     by_value
      - .offset:         80
        .size:           4
        .value_kind:     by_value
      - .offset:         84
        .size:           4
        .value_kind:     by_value
      - .offset:         88
        .size:           4
        .value_kind:     by_value
      - .offset:         92
        .size:           4
        .value_kind:     by_value
      - .offset:         96
        .size:           4
        .value_kind:     by_value
      - .offset:         100
        .size:           4
        .value_kind:     by_value
      - .offset:         104
        .size:           4
        .value_kind:     by_value
    .group_segment_fixed_size: 0
    .kernarg_segment_align: 8
    .kernarg_segment_size: 108
    .language:       OpenCL C
    .language_version:
      - 2
      - 0
    .max_flat_workgroup_size: 1024
    .name:           _Z11postprocessPKfPfS0_S0_S0_S1_S1_Piffffiiiiiff
    .private_segment_fixed_size: 0
    .sgpr_count:     44
    .sgpr_spill_count: 0
    .symbol:         _Z11postprocessPKfPfS0_S0_S0_S1_S1_Piffffiiiiiff.kd
    .uniform_work_group_size: 1
    .uses_dynamic_stack: false
    .vgpr_count:     22
    .vgpr_spill_count: 0
    .wavefront_size: 64
amdhsa.target:   amdgcn-amd-amdhsa--gfx906
amdhsa.version:
  - 1
  - 2
...

	.end_amdgpu_metadata
